;; amdgpu-corpus repo=ROCm/rocFFT kind=compiled arch=gfx906 opt=O3
	.text
	.amdgcn_target "amdgcn-amd-amdhsa--gfx906"
	.amdhsa_code_object_version 6
	.protected	fft_rtc_back_len55_factors_5_11_wgs_132_tpt_11_halfLds_dim1_sp_ip_CI_unitstride_sbrr_dirReg ; -- Begin function fft_rtc_back_len55_factors_5_11_wgs_132_tpt_11_halfLds_dim1_sp_ip_CI_unitstride_sbrr_dirReg
	.globl	fft_rtc_back_len55_factors_5_11_wgs_132_tpt_11_halfLds_dim1_sp_ip_CI_unitstride_sbrr_dirReg
	.p2align	8
	.type	fft_rtc_back_len55_factors_5_11_wgs_132_tpt_11_halfLds_dim1_sp_ip_CI_unitstride_sbrr_dirReg,@function
fft_rtc_back_len55_factors_5_11_wgs_132_tpt_11_halfLds_dim1_sp_ip_CI_unitstride_sbrr_dirReg: ; @fft_rtc_back_len55_factors_5_11_wgs_132_tpt_11_halfLds_dim1_sp_ip_CI_unitstride_sbrr_dirReg
; %bb.0:
	s_load_dwordx4 s[8:11], s[4:5], 0x10
	v_mul_u32_u24_e32 v1, 0x1746, v0
	v_lshrrev_b32_e32 v1, 16, v1
	v_mad_u64_u32 v[4:5], s[2:3], s6, 12, v[1:2]
	s_waitcnt lgkmcnt(0)
	s_load_dwordx2 s[0:1], s[8:9], 0x8
	v_mul_lo_u16_e32 v1, 11, v1
	v_mov_b32_e32 v5, 0
	v_cmp_gt_u64_e32 vcc, s[10:11], v[4:5]
	v_sub_u16_e32 v26, v0, v1
	s_waitcnt lgkmcnt(0)
	v_mad_u64_u32 v[2:3], s[2:3], s0, v4, 0
	s_load_dwordx2 s[2:3], s[4:5], 0x48
	v_lshlrev_b32_e32 v23, 3, v26
	v_mad_u64_u32 v[6:7], s[0:1], s1, v4, v[3:4]
                                        ; implicit-def: $vgpr16
                                        ; implicit-def: $vgpr18
                                        ; implicit-def: $vgpr20
                                        ; implicit-def: $vgpr22
	v_mov_b32_e32 v3, v6
	v_lshlrev_b64 v[0:1], 3, v[2:3]
                                        ; implicit-def: $vgpr3
	s_and_saveexec_b64 s[6:7], vcc
	s_cbranch_execz .LBB0_2
; %bb.1:
	s_waitcnt lgkmcnt(0)
	v_mov_b32_e32 v2, s3
	v_add_co_u32_e64 v3, s[0:1], s2, v0
	v_addc_co_u32_e64 v2, s[0:1], v2, v1, s[0:1]
	v_add_co_u32_e64 v5, s[0:1], v3, v23
	v_addc_co_u32_e64 v6, s[0:1], 0, v2, s[0:1]
	global_load_dwordx2 v[2:3], v[5:6], off
	global_load_dwordx2 v[15:16], v[5:6], off offset:88
	global_load_dwordx2 v[17:18], v[5:6], off offset:176
	;; [unrolled: 1-line block ×4, first 2 shown]
.LBB0_2:
	s_or_b64 exec, exec, s[6:7]
	s_mov_b32 s0, 0xaaaaaaab
	v_mul_hi_u32 v5, v4, s0
	s_waitcnt vmcnt(1)
	v_add_f32_e32 v6, v17, v19
	s_waitcnt vmcnt(0)
	v_sub_f32_e32 v8, v16, v22
	v_sub_f32_e32 v10, v21, v19
	v_lshrrev_b32_e32 v5, 3, v5
	v_mul_lo_u32 v9, v5, 12
	v_fma_f32 v5, -0.5, v6, v2
	v_mov_b32_e32 v6, v5
	v_fmac_f32_e32 v6, 0xbf737871, v8
	v_sub_u32_e32 v4, v4, v9
	v_sub_f32_e32 v9, v15, v17
	v_add_f32_e32 v9, v9, v10
	v_sub_f32_e32 v10, v18, v20
	v_fmac_f32_e32 v5, 0x3f737871, v8
	v_fmac_f32_e32 v6, 0xbf167918, v10
	;; [unrolled: 1-line block ×5, first 2 shown]
	v_add_f32_e32 v9, v15, v21
	v_add_f32_e32 v7, v2, v15
	v_fmac_f32_e32 v2, -0.5, v9
	v_sub_f32_e32 v9, v17, v15
	v_sub_f32_e32 v11, v19, v21
	v_add_f32_e32 v9, v9, v11
	v_mul_u32_u24_e32 v11, 55, v4
	v_add_f32_e32 v4, v7, v17
	v_mov_b32_e32 v7, v2
	v_add_f32_e32 v4, v4, v19
	v_fmac_f32_e32 v7, 0x3f737871, v10
	v_fmac_f32_e32 v2, 0xbf737871, v10
	v_add_f32_e32 v24, v4, v21
	v_fmac_f32_e32 v7, 0xbf167918, v8
	v_fmac_f32_e32 v2, 0x3f167918, v8
	v_mad_u32_u24 v4, v26, 20, 0
	v_fmac_f32_e32 v7, 0x3e9e377a, v9
	v_fmac_f32_e32 v2, 0x3e9e377a, v9
	v_lshl_add_u32 v29, v11, 2, v4
	v_cmp_gt_u16_e64 s[0:1], 5, v26
	v_lshlrev_b32_e32 v27, 2, v11
	v_lshlrev_b32_e32 v28, 2, v26
	ds_write2_b32 v29, v24, v6 offset1:1
	ds_write2_b32 v29, v7, v2 offset0:2 offset1:3
	ds_write_b32 v29, v5 offset:16
	s_waitcnt lgkmcnt(0)
	s_barrier
	s_waitcnt lgkmcnt(0)
                                        ; implicit-def: $vgpr8
                                        ; implicit-def: $vgpr13
                                        ; implicit-def: $vgpr11
	s_and_saveexec_b64 s[6:7], s[0:1]
	s_cbranch_execz .LBB0_4
; %bb.3:
	v_add3_u32 v2, 0, v27, v28
	ds_read_b32 v24, v2
	v_lshlrev_b32_e32 v2, 4, v26
	v_sub_u32_e32 v2, v4, v2
	v_add_u32_e32 v2, v2, v27
	ds_read2_b32 v[6:7], v2 offset0:5 offset1:10
	ds_read2_b32 v[4:5], v2 offset0:15 offset1:20
	;; [unrolled: 1-line block ×5, first 2 shown]
	s_waitcnt lgkmcnt(3)
	v_mov_b32_e32 v2, v4
.LBB0_4:
	s_or_b64 exec, exec, s[6:7]
	v_add_f32_e32 v4, v3, v16
	v_add_f32_e32 v4, v4, v18
	;; [unrolled: 1-line block ×5, first 2 shown]
	v_fma_f32 v4, -0.5, v4, v3
	v_sub_f32_e32 v21, v15, v21
	v_mov_b32_e32 v14, v4
	v_fmac_f32_e32 v14, 0x3f737871, v21
	v_sub_f32_e32 v17, v17, v19
	v_sub_f32_e32 v15, v16, v18
	;; [unrolled: 1-line block ×3, first 2 shown]
	v_fmac_f32_e32 v4, 0xbf737871, v21
	v_fmac_f32_e32 v14, 0x3f167918, v17
	v_add_f32_e32 v15, v15, v19
	v_fmac_f32_e32 v4, 0xbf167918, v17
	v_fmac_f32_e32 v14, 0x3e9e377a, v15
	;; [unrolled: 1-line block ×3, first 2 shown]
	v_add_f32_e32 v15, v16, v22
	v_fmac_f32_e32 v3, -0.5, v15
	v_mov_b32_e32 v15, v3
	v_fmac_f32_e32 v15, 0xbf737871, v17
	v_sub_f32_e32 v16, v18, v16
	v_sub_f32_e32 v18, v20, v22
	v_fmac_f32_e32 v3, 0x3f737871, v17
	v_fmac_f32_e32 v15, 0x3f167918, v21
	v_add_f32_e32 v16, v16, v18
	v_fmac_f32_e32 v3, 0xbf167918, v21
	v_fmac_f32_e32 v15, 0x3e9e377a, v16
	;; [unrolled: 1-line block ×3, first 2 shown]
	s_waitcnt lgkmcnt(0)
	s_barrier
	ds_write2_b32 v29, v25, v14 offset1:1
	ds_write2_b32 v29, v15, v3 offset0:2 offset1:3
	ds_write_b32 v29, v4 offset:16
	s_waitcnt lgkmcnt(0)
	s_barrier
	s_waitcnt lgkmcnt(0)
                                        ; implicit-def: $vgpr21
                                        ; implicit-def: $vgpr19
                                        ; implicit-def: $vgpr17
	s_and_saveexec_b64 s[6:7], s[0:1]
	s_cbranch_execnz .LBB0_7
; %bb.5:
	s_or_b64 exec, exec, s[6:7]
	s_and_b64 s[0:1], vcc, s[0:1]
	s_and_saveexec_b64 s[6:7], s[0:1]
	s_cbranch_execnz .LBB0_8
.LBB0_6:
	s_endpgm
.LBB0_7:
	v_add3_u32 v3, 0, v27, v28
	v_add3_u32 v20, 0, v28, v27
	ds_read_b32 v25, v3
	ds_read2_b32 v[14:15], v20 offset0:5 offset1:10
	ds_read2_b32 v[3:4], v20 offset0:15 offset1:20
	;; [unrolled: 1-line block ×5, first 2 shown]
	s_or_b64 exec, exec, s[6:7]
	s_and_b64 s[0:1], vcc, s[0:1]
	s_and_saveexec_b64 s[6:7], s[0:1]
	s_cbranch_execz .LBB0_6
.LBB0_8:
	s_movk_i32 s0, 0xcd
	v_mul_lo_u16_sdwa v22, v26, s0 dst_sel:DWORD dst_unused:UNUSED_PAD src0_sel:BYTE_0 src1_sel:DWORD
	v_lshrrev_b16_e32 v22, 10, v22
	v_mul_lo_u16_e32 v22, 5, v22
	s_load_dwordx2 s[0:1], s[4:5], 0x0
	v_sub_u16_e32 v22, v26, v22
	v_mul_lo_u16_e32 v22, 10, v22
	v_and_b32_e32 v22, 0xfe, v22
	v_lshlrev_b32_e32 v22, 3, v22
	s_waitcnt lgkmcnt(0)
	global_load_dwordx4 v[26:29], v22, s[0:1]
	global_load_dwordx4 v[30:33], v22, s[0:1] offset:64
	global_load_dwordx4 v[34:37], v22, s[0:1] offset:16
	;; [unrolled: 1-line block ×4, first 2 shown]
	s_mov_b32 s0, 0xbf75a155
	s_mov_b32 s1, 0x3f575c64
	;; [unrolled: 1-line block ×5, first 2 shown]
	v_add_co_u32_e32 v0, vcc, s2, v0
	s_waitcnt vmcnt(4)
	v_mul_f32_e32 v22, v6, v27
	s_waitcnt vmcnt(3)
	v_mul_f32_e32 v47, v13, v33
	v_mul_f32_e32 v46, v7, v29
	;; [unrolled: 1-line block ×6, first 2 shown]
	s_waitcnt vmcnt(1)
	v_mul_f32_e32 v52, v10, v39
	v_mul_f32_e32 v39, v18, v39
	v_fma_f32 v14, v14, v26, -v22
	v_fma_f32 v21, v21, v32, -v47
	v_mul_f32_e32 v29, v15, v29
	v_mul_f32_e32 v49, v2, v35
	;; [unrolled: 1-line block ×5, first 2 shown]
	v_fma_f32 v15, v15, v28, -v46
	v_fma_f32 v20, v20, v30, -v48
	v_fmac_f32_e32 v31, v12, v30
	v_fmac_f32_e32 v39, v10, v38
	v_add_f32_e32 v10, v21, v14
	v_sub_f32_e32 v30, v14, v21
	v_mul_f32_e32 v50, v5, v37
	s_waitcnt vmcnt(0)
	v_mul_f32_e32 v54, v8, v43
	v_mul_f32_e32 v43, v16, v43
	v_fmac_f32_e32 v27, v6, v26
	v_fmac_f32_e32 v33, v13, v32
	v_fma_f32 v12, v3, v34, -v49
	v_fmac_f32_e32 v35, v2, v34
	v_fma_f32 v19, v19, v40, -v51
	v_fmac_f32_e32 v41, v11, v40
	v_add_f32_e32 v11, v20, v15
	v_sub_f32_e32 v34, v15, v20
	v_mul_f32_e32 v49, 0xbf75a155, v10
	v_mul_f32_e32 v51, 0xbe903f40, v30
	v_mul_f32_e32 v37, v4, v37
	v_fmac_f32_e32 v29, v7, v28
	v_fma_f32 v13, v4, v36, -v50
	v_fma_f32 v18, v18, v38, -v52
	;; [unrolled: 1-line block ×3, first 2 shown]
	v_fmac_f32_e32 v43, v8, v42
	v_sub_f32_e32 v22, v27, v33
	v_add_f32_e32 v28, v33, v27
	v_sub_f32_e32 v42, v12, v19
	v_mul_f32_e32 v50, 0x3f575c64, v11
	v_mul_f32_e32 v52, 0x3f0a6770, v34
	v_mov_b32_e32 v2, v49
	v_mov_b32_e32 v4, v51
	v_mul_f32_e32 v53, v9, v45
	v_mul_f32_e32 v45, v17, v45
	v_fmac_f32_e32 v37, v5, v36
	v_sub_f32_e32 v26, v29, v31
	v_add_f32_e32 v32, v31, v29
	v_add_f32_e32 v36, v19, v12
	v_sub_f32_e32 v48, v13, v18
	v_mul_f32_e32 v54, 0xbf4178ce, v42
	v_mov_b32_e32 v3, v50
	v_mov_b32_e32 v5, v52
	v_fmac_f32_e32 v2, 0x3e903f40, v22
	v_fmac_f32_e32 v4, 0xbf75a155, v28
	v_fma_f32 v17, v17, v44, -v53
	v_fmac_f32_e32 v45, v9, v44
	v_add_f32_e32 v40, v41, v35
	v_add_f32_e32 v44, v18, v13
	v_mul_f32_e32 v53, 0xbf27a4f4, v36
	v_mov_b32_e32 v7, v54
	v_fmac_f32_e32 v3, 0xbf0a6770, v26
	v_fmac_f32_e32 v5, 0x3f575c64, v32
	v_add_f32_e32 v2, v25, v2
	v_add_f32_e32 v4, v24, v4
	v_mul_f32_e32 v56, 0x3f68dda4, v48
	v_sub_f32_e32 v38, v35, v41
	v_add_f32_e32 v47, v39, v37
	v_mul_f32_e32 v55, 0x3ed4b147, v44
	v_mov_b32_e32 v6, v53
	v_fmac_f32_e32 v7, 0xbf27a4f4, v40
	v_add_f32_e32 v2, v2, v3
	v_add_f32_e32 v3, v4, v5
	v_mov_b32_e32 v4, v56
	v_add_f32_e32 v57, v17, v16
	v_sub_f32_e32 v46, v37, v39
	v_mov_b32_e32 v8, v55
	v_fmac_f32_e32 v6, 0x3f4178ce, v38
	v_add_f32_e32 v3, v3, v7
	v_fmac_f32_e32 v4, 0x3ed4b147, v47
	v_mul_f32_e32 v58, 0xbe11bafb, v57
	v_fmac_f32_e32 v8, 0xbf68dda4, v46
	v_add_f32_e32 v2, v2, v6
	v_add_f32_e32 v4, v3, v4
	v_sub_f32_e32 v59, v43, v45
	v_mov_b32_e32 v3, v58
	v_sub_f32_e32 v61, v16, v17
	v_add_f32_e32 v2, v2, v8
	v_fmac_f32_e32 v3, 0x3f7d64f0, v59
	v_mul_f32_e32 v62, 0xbf7d64f0, v61
	v_add_f32_e32 v3, v2, v3
	v_add_f32_e32 v60, v45, v43
	v_mov_b32_e32 v2, v62
	v_fmac_f32_e32 v2, 0xbe11bafb, v60
	v_mul_f32_e32 v63, 0xbf27a4f4, v10
	v_add_f32_e32 v2, v4, v2
	v_mov_b32_e32 v4, v63
	v_mul_f32_e32 v64, 0xbe11bafb, v11
	v_fmac_f32_e32 v4, 0x3f4178ce, v22
	v_mov_b32_e32 v5, v64
	v_add_f32_e32 v4, v25, v4
	v_fmac_f32_e32 v5, 0xbf7d64f0, v26
	v_mul_f32_e32 v65, 0x3f575c64, v36
	v_add_f32_e32 v4, v4, v5
	v_mov_b32_e32 v5, v65
	v_fmac_f32_e32 v5, 0x3f0a6770, v38
	v_mul_f32_e32 v66, 0xbf75a155, v44
	v_add_f32_e32 v4, v4, v5
	v_mov_b32_e32 v5, v66
	;; [unrolled: 4-line block ×3, first 2 shown]
	v_mul_f32_e32 v68, 0x3f7d64f0, v34
	v_fmac_f32_e32 v5, 0xbf27a4f4, v28
	v_mov_b32_e32 v6, v68
	v_add_f32_e32 v5, v24, v5
	v_fmac_f32_e32 v6, 0xbe11bafb, v32
	v_mul_f32_e32 v69, 0xbf0a6770, v42
	v_add_f32_e32 v5, v5, v6
	v_mov_b32_e32 v6, v69
	v_fmac_f32_e32 v6, 0x3f575c64, v40
	v_mul_f32_e32 v70, 0xbe903f40, v48
	v_add_f32_e32 v5, v5, v6
	v_mov_b32_e32 v6, v70
	;; [unrolled: 4-line block ×5, first 2 shown]
	v_mul_f32_e32 v74, 0xbf75a155, v11
	v_fmac_f32_e32 v6, 0x3f7d64f0, v22
	v_mov_b32_e32 v7, v74
	v_add_f32_e32 v6, v25, v6
	v_fmac_f32_e32 v7, 0xbe903f40, v26
	v_mul_f32_e32 v75, 0x3ed4b147, v36
	v_add_f32_e32 v6, v6, v7
	v_mov_b32_e32 v7, v75
	v_fmac_f32_e32 v7, 0xbf68dda4, v38
	v_mul_f32_e32 v76, 0x3f575c64, v44
	v_add_f32_e32 v6, v6, v7
	v_mov_b32_e32 v7, v76
	;; [unrolled: 4-line block ×3, first 2 shown]
	v_mul_f32_e32 v78, 0x3e903f40, v34
	v_fmac_f32_e32 v7, 0xbe11bafb, v28
	v_mov_b32_e32 v8, v78
	v_add_f32_e32 v7, v24, v7
	v_fmac_f32_e32 v8, 0xbf75a155, v32
	v_mul_f32_e32 v79, 0x3f68dda4, v42
	v_add_f32_e32 v7, v7, v8
	v_mov_b32_e32 v8, v79
	v_fmac_f32_e32 v8, 0x3ed4b147, v40
	v_mul_f32_e32 v80, 0xbf0a6770, v48
	v_add_f32_e32 v7, v7, v8
	v_mov_b32_e32 v8, v80
	;; [unrolled: 4-line block ×5, first 2 shown]
	v_mul_f32_e32 v84, 0xbf27a4f4, v11
	v_fmac_f32_e32 v8, 0x3f68dda4, v22
	v_mov_b32_e32 v9, v84
	v_add_f32_e32 v8, v25, v8
	v_fmac_f32_e32 v9, 0x3f4178ce, v26
	v_mul_f32_e32 v85, 0xbf75a155, v36
	v_add_f32_e32 v8, v8, v9
	v_mov_b32_e32 v9, v85
	v_fmac_f32_e32 v9, 0xbe903f40, v38
	v_mul_f32_e32 v86, 0xbe11bafb, v44
	v_add_f32_e32 v8, v8, v9
	v_mov_b32_e32 v9, v86
	v_add_f32_e32 v14, v25, v14
	v_fmac_f32_e32 v9, 0xbf7d64f0, v46
	v_mul_f32_e32 v87, 0xbf68dda4, v30
	v_add_f32_e32 v14, v14, v15
	v_add_f32_e32 v8, v8, v9
	v_mov_b32_e32 v9, v87
	v_mul_f32_e32 v88, 0xbf4178ce, v34
	v_add_f32_e32 v12, v14, v12
	v_fmac_f32_e32 v9, 0x3ed4b147, v28
	v_mov_b32_e32 v89, v88
	v_add_f32_e32 v12, v12, v13
	v_add_f32_e32 v13, v24, v27
	;; [unrolled: 1-line block ×3, first 2 shown]
	v_fmac_f32_e32 v89, 0xbf27a4f4, v32
	v_add_f32_e32 v13, v13, v29
	v_add_f32_e32 v9, v9, v89
	v_mul_f32_e32 v89, 0x3e903f40, v42
	v_add_f32_e32 v13, v13, v35
	v_mov_b32_e32 v90, v89
	v_add_f32_e32 v13, v13, v37
	v_fmac_f32_e32 v90, 0xbf75a155, v40
	v_add_f32_e32 v12, v12, v16
	v_add_f32_e32 v13, v13, v43
	;; [unrolled: 1-line block ×3, first 2 shown]
	v_mul_f32_e32 v90, 0x3f7d64f0, v48
	v_add_f32_e32 v12, v17, v12
	v_add_f32_e32 v13, v45, v13
	v_mov_b32_e32 v91, v90
	v_add_f32_e32 v12, v18, v12
	v_add_f32_e32 v13, v39, v13
	v_fmac_f32_e32 v91, 0xbe11bafb, v47
	v_mul_f32_e32 v92, 0x3f575c64, v57
	v_add_f32_e32 v12, v19, v12
	v_add_f32_e32 v13, v41, v13
	;; [unrolled: 1-line block ×3, first 2 shown]
	v_mov_b32_e32 v9, v92
	v_add_f32_e32 v12, v20, v12
	v_add_f32_e32 v14, v31, v13
	v_fmac_f32_e32 v49, 0xbe903f40, v22
	v_fmac_f32_e32 v9, 0xbf0a6770, v59
	v_mul_f32_e32 v93, 0x3f0a6770, v61
	v_add_f32_e32 v13, v21, v12
	v_add_f32_e32 v12, v33, v14
	;; [unrolled: 1-line block ×3, first 2 shown]
	v_fmac_f32_e32 v50, 0x3f0a6770, v26
	v_fma_f32 v15, v28, s0, -v51
	v_add_f32_e32 v9, v8, v9
	v_mov_b32_e32 v8, v93
	v_add_f32_e32 v14, v14, v50
	v_fmac_f32_e32 v53, 0xbf4178ce, v38
	v_add_f32_e32 v15, v24, v15
	v_fma_f32 v16, v32, s1, -v52
	v_fmac_f32_e32 v8, 0x3f575c64, v60
	v_add_f32_e32 v14, v14, v53
	v_fmac_f32_e32 v55, 0x3f68dda4, v46
	v_add_f32_e32 v15, v15, v16
	v_fma_f32 v16, v40, s4, -v54
	v_add_f32_e32 v8, v91, v8
	v_mul_f32_e32 v91, 0x3f575c64, v10
	v_add_f32_e32 v14, v14, v55
	v_add_f32_e32 v15, v15, v16
	v_fma_f32 v16, v47, s5, -v56
	v_fmac_f32_e32 v58, 0xbf7d64f0, v59
	v_mov_b32_e32 v10, v91
	v_mul_f32_e32 v94, 0x3ed4b147, v11
	v_add_f32_e32 v16, v15, v16
	v_add_f32_e32 v15, v14, v58
	v_fma_f32 v14, v60, s6, -v62
	v_fmac_f32_e32 v63, 0xbf4178ce, v22
	v_fmac_f32_e32 v10, 0x3f0a6770, v22
	v_mov_b32_e32 v11, v94
	v_add_f32_e32 v14, v16, v14
	v_add_f32_e32 v16, v25, v63
	v_fmac_f32_e32 v64, 0x3f7d64f0, v26
	v_fma_f32 v17, v28, s4, -v67
	v_add_f32_e32 v10, v25, v10
	v_fmac_f32_e32 v11, 0x3f68dda4, v26
	v_mul_f32_e32 v36, 0xbe11bafb, v36
	v_add_f32_e32 v16, v16, v64
	v_fmac_f32_e32 v65, 0xbf0a6770, v38
	v_add_f32_e32 v17, v24, v17
	v_fma_f32 v18, v32, s6, -v68
	v_add_f32_e32 v10, v10, v11
	v_mov_b32_e32 v11, v36
	v_add_f32_e32 v16, v16, v65
	v_fmac_f32_e32 v66, 0xbe903f40, v46
	v_add_f32_e32 v17, v17, v18
	v_fma_f32 v18, v40, s1, -v69
	v_fmac_f32_e32 v11, 0x3f7d64f0, v38
	v_mul_f32_e32 v44, 0xbf27a4f4, v44
	v_add_f32_e32 v16, v16, v66
	v_add_f32_e32 v17, v17, v18
	v_fma_f32 v18, v47, s0, -v70
	v_fmac_f32_e32 v71, 0x3f68dda4, v59
	v_add_f32_e32 v10, v10, v11
	v_mov_b32_e32 v11, v44
	v_add_f32_e32 v18, v17, v18
	v_add_f32_e32 v17, v16, v71
	v_fma_f32 v16, v60, s5, -v72
	v_fmac_f32_e32 v73, 0xbf7d64f0, v22
	v_fmac_f32_e32 v11, 0x3f4178ce, v46
	v_mul_f32_e32 v30, 0xbf0a6770, v30
	v_add_f32_e32 v16, v18, v16
	v_add_f32_e32 v18, v25, v73
	v_fmac_f32_e32 v74, 0x3e903f40, v26
	v_fma_f32 v19, v28, s6, -v77
	v_add_f32_e32 v10, v10, v11
	v_mov_b32_e32 v11, v30
	v_mul_f32_e32 v34, 0xbf68dda4, v34
	v_add_f32_e32 v18, v18, v74
	v_fmac_f32_e32 v75, 0x3f68dda4, v38
	v_add_f32_e32 v19, v24, v19
	v_fma_f32 v20, v32, s0, -v78
	v_fmac_f32_e32 v11, 0x3f575c64, v28
	v_mov_b32_e32 v95, v34
	v_add_f32_e32 v18, v18, v75
	v_fmac_f32_e32 v76, 0xbf0a6770, v46
	v_add_f32_e32 v19, v19, v20
	v_fma_f32 v20, v40, s5, -v79
	v_add_f32_e32 v11, v24, v11
	v_fmac_f32_e32 v95, 0x3ed4b147, v32
	v_mul_f32_e32 v42, 0xbf7d64f0, v42
	v_add_f32_e32 v18, v18, v76
	v_add_f32_e32 v19, v19, v20
	v_fma_f32 v20, v47, s1, -v80
	v_fmac_f32_e32 v81, 0xbf4178ce, v59
	v_add_f32_e32 v11, v11, v95
	v_mov_b32_e32 v95, v42
	v_add_f32_e32 v20, v19, v20
	v_add_f32_e32 v19, v18, v81
	v_fma_f32 v18, v60, s4, -v82
	v_fmac_f32_e32 v83, 0xbf68dda4, v22
	v_fmac_f32_e32 v91, 0xbf0a6770, v22
	;; [unrolled: 1-line block ×3, first 2 shown]
	v_mul_f32_e32 v48, 0xbf4178ce, v48
	v_add_f32_e32 v18, v20, v18
	v_add_f32_e32 v20, v25, v83
	v_fma_f32 v21, v28, s5, -v87
	v_add_f32_e32 v22, v25, v91
	v_fmac_f32_e32 v94, 0xbf68dda4, v26
	v_fma_f32 v25, v28, s1, -v30
	v_add_f32_e32 v11, v11, v95
	v_mov_b32_e32 v95, v48
	v_add_f32_e32 v21, v24, v21
	v_add_f32_e32 v22, v22, v94
	v_fmac_f32_e32 v36, 0xbf7d64f0, v38
	v_add_f32_e32 v24, v24, v25
	v_fma_f32 v25, v32, s5, -v34
	v_fmac_f32_e32 v95, 0xbf27a4f4, v47
	v_mul_f32_e32 v57, 0xbf75a155, v57
	v_add_f32_e32 v22, v22, v36
	v_fmac_f32_e32 v44, 0xbf4178ce, v46
	v_add_f32_e32 v24, v24, v25
	v_fma_f32 v25, v40, s6, -v42
	v_add_f32_e32 v95, v11, v95
	v_mov_b32_e32 v11, v57
	v_mul_f32_e32 v61, 0xbe903f40, v61
	v_add_f32_e32 v22, v22, v44
	v_fmac_f32_e32 v57, 0xbe903f40, v59
	v_add_f32_e32 v24, v24, v25
	v_fma_f32 v25, v47, s4, -v48
	v_fmac_f32_e32 v84, 0xbf4178ce, v26
	v_add_f32_e32 v24, v24, v25
	v_add_f32_e32 v25, v22, v57
	v_fma_f32 v22, v60, s0, -v61
	v_add_f32_e32 v20, v20, v84
	v_fmac_f32_e32 v85, 0x3e903f40, v38
	v_fma_f32 v27, v32, s4, -v88
	v_add_f32_e32 v24, v24, v22
	v_mov_b32_e32 v22, s3
	v_fmac_f32_e32 v11, 0x3e903f40, v59
	v_add_f32_e32 v20, v20, v85
	v_fmac_f32_e32 v86, 0x3f7d64f0, v46
	v_add_f32_e32 v21, v21, v27
	v_fma_f32 v27, v40, s0, -v89
	v_addc_co_u32_e32 v1, vcc, v22, v1, vcc
	v_add_f32_e32 v11, v10, v11
	v_mov_b32_e32 v10, v61
	v_add_f32_e32 v20, v20, v86
	v_add_f32_e32 v21, v21, v27
	v_fma_f32 v27, v47, s6, -v90
	v_fmac_f32_e32 v92, 0x3f0a6770, v59
	v_add_co_u32_e32 v0, vcc, v0, v23
	v_fmac_f32_e32 v10, 0xbf75a155, v60
	v_add_f32_e32 v27, v21, v27
	v_add_f32_e32 v21, v20, v92
	v_fma_f32 v20, v60, s1, -v93
	v_addc_co_u32_e32 v1, vcc, 0, v1, vcc
	v_add_f32_e32 v10, v95, v10
	v_add_f32_e32 v20, v27, v20
	global_store_dwordx2 v[0:1], v[12:13], off
	global_store_dwordx2 v[0:1], v[10:11], off offset:40
	global_store_dwordx2 v[0:1], v[8:9], off offset:80
	global_store_dwordx2 v[0:1], v[6:7], off offset:120
	global_store_dwordx2 v[0:1], v[4:5], off offset:160
	global_store_dwordx2 v[0:1], v[2:3], off offset:200
	global_store_dwordx2 v[0:1], v[14:15], off offset:240
	global_store_dwordx2 v[0:1], v[16:17], off offset:280
	global_store_dwordx2 v[0:1], v[18:19], off offset:320
	global_store_dwordx2 v[0:1], v[20:21], off offset:360
	global_store_dwordx2 v[0:1], v[24:25], off offset:400
	s_endpgm
	.section	.rodata,"a",@progbits
	.p2align	6, 0x0
	.amdhsa_kernel fft_rtc_back_len55_factors_5_11_wgs_132_tpt_11_halfLds_dim1_sp_ip_CI_unitstride_sbrr_dirReg
		.amdhsa_group_segment_fixed_size 0
		.amdhsa_private_segment_fixed_size 0
		.amdhsa_kernarg_size 80
		.amdhsa_user_sgpr_count 6
		.amdhsa_user_sgpr_private_segment_buffer 1
		.amdhsa_user_sgpr_dispatch_ptr 0
		.amdhsa_user_sgpr_queue_ptr 0
		.amdhsa_user_sgpr_kernarg_segment_ptr 1
		.amdhsa_user_sgpr_dispatch_id 0
		.amdhsa_user_sgpr_flat_scratch_init 0
		.amdhsa_user_sgpr_private_segment_size 0
		.amdhsa_uses_dynamic_stack 0
		.amdhsa_system_sgpr_private_segment_wavefront_offset 0
		.amdhsa_system_sgpr_workgroup_id_x 1
		.amdhsa_system_sgpr_workgroup_id_y 0
		.amdhsa_system_sgpr_workgroup_id_z 0
		.amdhsa_system_sgpr_workgroup_info 0
		.amdhsa_system_vgpr_workitem_id 0
		.amdhsa_next_free_vgpr 96
		.amdhsa_next_free_sgpr 12
		.amdhsa_reserve_vcc 1
		.amdhsa_reserve_flat_scratch 0
		.amdhsa_float_round_mode_32 0
		.amdhsa_float_round_mode_16_64 0
		.amdhsa_float_denorm_mode_32 3
		.amdhsa_float_denorm_mode_16_64 3
		.amdhsa_dx10_clamp 1
		.amdhsa_ieee_mode 1
		.amdhsa_fp16_overflow 0
		.amdhsa_exception_fp_ieee_invalid_op 0
		.amdhsa_exception_fp_denorm_src 0
		.amdhsa_exception_fp_ieee_div_zero 0
		.amdhsa_exception_fp_ieee_overflow 0
		.amdhsa_exception_fp_ieee_underflow 0
		.amdhsa_exception_fp_ieee_inexact 0
		.amdhsa_exception_int_div_zero 0
	.end_amdhsa_kernel
	.text
.Lfunc_end0:
	.size	fft_rtc_back_len55_factors_5_11_wgs_132_tpt_11_halfLds_dim1_sp_ip_CI_unitstride_sbrr_dirReg, .Lfunc_end0-fft_rtc_back_len55_factors_5_11_wgs_132_tpt_11_halfLds_dim1_sp_ip_CI_unitstride_sbrr_dirReg
                                        ; -- End function
	.section	.AMDGPU.csdata,"",@progbits
; Kernel info:
; codeLenInByte = 3308
; NumSgprs: 16
; NumVgprs: 96
; ScratchSize: 0
; MemoryBound: 0
; FloatMode: 240
; IeeeMode: 1
; LDSByteSize: 0 bytes/workgroup (compile time only)
; SGPRBlocks: 1
; VGPRBlocks: 23
; NumSGPRsForWavesPerEU: 16
; NumVGPRsForWavesPerEU: 96
; Occupancy: 2
; WaveLimiterHint : 1
; COMPUTE_PGM_RSRC2:SCRATCH_EN: 0
; COMPUTE_PGM_RSRC2:USER_SGPR: 6
; COMPUTE_PGM_RSRC2:TRAP_HANDLER: 0
; COMPUTE_PGM_RSRC2:TGID_X_EN: 1
; COMPUTE_PGM_RSRC2:TGID_Y_EN: 0
; COMPUTE_PGM_RSRC2:TGID_Z_EN: 0
; COMPUTE_PGM_RSRC2:TIDIG_COMP_CNT: 0
	.type	__hip_cuid_8c99c51bea52306b,@object ; @__hip_cuid_8c99c51bea52306b
	.section	.bss,"aw",@nobits
	.globl	__hip_cuid_8c99c51bea52306b
__hip_cuid_8c99c51bea52306b:
	.byte	0                               ; 0x0
	.size	__hip_cuid_8c99c51bea52306b, 1

	.ident	"AMD clang version 19.0.0git (https://github.com/RadeonOpenCompute/llvm-project roc-6.4.0 25133 c7fe45cf4b819c5991fe208aaa96edf142730f1d)"
	.section	".note.GNU-stack","",@progbits
	.addrsig
	.addrsig_sym __hip_cuid_8c99c51bea52306b
	.amdgpu_metadata
---
amdhsa.kernels:
  - .args:
      - .actual_access:  read_only
        .address_space:  global
        .offset:         0
        .size:           8
        .value_kind:     global_buffer
      - .actual_access:  read_only
        .address_space:  global
        .offset:         8
        .size:           8
        .value_kind:     global_buffer
      - .actual_access:  read_only
        .address_space:  global
        .offset:         16
        .size:           8
        .value_kind:     global_buffer
      - .offset:         24
        .size:           8
        .value_kind:     by_value
      - .actual_access:  read_only
        .address_space:  global
        .offset:         32
        .size:           8
        .value_kind:     global_buffer
      - .actual_access:  read_only
        .address_space:  global
        .offset:         40
        .size:           8
        .value_kind:     global_buffer
      - .offset:         48
        .size:           4
        .value_kind:     by_value
      - .actual_access:  read_only
        .address_space:  global
        .offset:         56
        .size:           8
        .value_kind:     global_buffer
      - .actual_access:  read_only
        .address_space:  global
        .offset:         64
        .size:           8
        .value_kind:     global_buffer
      - .address_space:  global
        .offset:         72
        .size:           8
        .value_kind:     global_buffer
    .group_segment_fixed_size: 0
    .kernarg_segment_align: 8
    .kernarg_segment_size: 80
    .language:       OpenCL C
    .language_version:
      - 2
      - 0
    .max_flat_workgroup_size: 132
    .name:           fft_rtc_back_len55_factors_5_11_wgs_132_tpt_11_halfLds_dim1_sp_ip_CI_unitstride_sbrr_dirReg
    .private_segment_fixed_size: 0
    .sgpr_count:     16
    .sgpr_spill_count: 0
    .symbol:         fft_rtc_back_len55_factors_5_11_wgs_132_tpt_11_halfLds_dim1_sp_ip_CI_unitstride_sbrr_dirReg.kd
    .uniform_work_group_size: 1
    .uses_dynamic_stack: false
    .vgpr_count:     96
    .vgpr_spill_count: 0
    .wavefront_size: 64
amdhsa.target:   amdgcn-amd-amdhsa--gfx906
amdhsa.version:
  - 1
  - 2
...

	.end_amdgpu_metadata
